;; amdgpu-corpus repo=ggml-org/llama.cpp kind=compiled arch=gfx1250 opt=O3
	.amdgcn_target "amdgcn-amd-amdhsa--gfx1250"
	.amdhsa_code_object_version 6
	.section	.text._ZL17diag_mask_inf_f32PKfPfiii,"axG",@progbits,_ZL17diag_mask_inf_f32PKfPfiii,comdat
	.globl	_ZL17diag_mask_inf_f32PKfPfiii  ; -- Begin function _ZL17diag_mask_inf_f32PKfPfiii
	.p2align	8
	.type	_ZL17diag_mask_inf_f32PKfPfiii,@function
_ZL17diag_mask_inf_f32PKfPfiii:         ; @_ZL17diag_mask_inf_f32PKfPfiii
; %bb.0:
	s_clause 0x1
	s_load_u16 s3, s[0:1], 0x2e
	s_load_b96 s[4:6], s[0:1], 0x10
	s_bfe_u32 s2, ttmp6, 0x40010
	s_bfe_u32 s7, ttmp6, 0x40004
	s_add_co_i32 s2, s2, 1
	v_bfe_u32 v1, v0, 10, 10
	s_mul_i32 s2, ttmp7, s2
	s_delay_alu instid0(SALU_CYCLE_1) | instskip(SKIP_1) | instid1(SALU_CYCLE_1)
	s_add_co_i32 s7, s7, s2
	s_getreg_b32 s2, hwreg(HW_REG_IB_STS2, 6, 4)
	s_cmp_eq_u32 s2, 0
	s_cselect_b32 s7, ttmp7, s7
	s_wait_kmcnt 0x0
	v_mad_u32 v1, s7, s3, v1
	s_mov_b32 s3, exec_lo
	s_delay_alu instid0(VALU_DEP_1)
	v_cmpx_gt_i32_e64 s4, v1
	s_cbranch_execz .LBB0_2
; %bb.1:
	s_add_nc_u64 s[8:9], s[0:1], 32
	s_bfe_u32 s7, ttmp6, 0x4000c
	s_load_b32 s3, s[8:9], 0xc
	s_add_co_i32 s7, s7, 1
	s_wait_xcnt 0x0
	s_and_b32 s8, ttmp6, 15
	s_mul_i32 s7, ttmp9, s7
	v_and_b32_e32 v0, 0x3ff, v0
	s_add_co_i32 s8, s8, s7
	s_wait_kmcnt 0x0
	s_and_b32 s3, s3, 0xffff
	s_cmp_eq_u32 s2, 0
	s_cselect_b32 s2, ttmp9, s8
	s_delay_alu instid0(SALU_CYCLE_1) | instskip(SKIP_1) | instid1(VALU_DEP_1)
	v_mad_u32 v0, s2, s3, v0
	s_load_b128 s[0:3], s[0:1], 0x0
	v_mad_u32 v2, v0, s4, v1
	s_wait_kmcnt 0x0
	global_load_b32 v3, v2, s[0:1] scale_offset
	s_wait_xcnt 0x0
	s_abs_i32 s0, s5
	s_delay_alu instid0(SALU_CYCLE_1) | instskip(SKIP_1) | instid1(SALU_CYCLE_2)
	s_cvt_f32_u32 s1, s0
	s_sub_co_i32 s4, 0, s0
	v_rcp_iflag_f32_e32 v4, s1
	v_nop
	s_delay_alu instid0(TRANS32_DEP_1) | instskip(SKIP_2) | instid1(VALU_DEP_1)
	v_readfirstlane_b32 s1, v4
	v_sub_nc_u32_e32 v4, 0, v0
	s_mul_f32 s1, s1, 0x4f7ffffe
	v_max_i32_e32 v4, v0, v4
	v_ashrrev_i32_e32 v0, 31, v0
	s_delay_alu instid0(SALU_CYCLE_1) | instskip(NEXT) | instid1(SALU_CYCLE_3)
	s_cvt_u32_f32 s1, s1
	s_mul_i32 s4, s4, s1
	s_delay_alu instid0(SALU_CYCLE_1) | instskip(NEXT) | instid1(SALU_CYCLE_1)
	s_mul_hi_u32 s4, s1, s4
	s_add_co_i32 s1, s1, s4
	s_delay_alu instid0(SALU_CYCLE_1) | instskip(NEXT) | instid1(VALU_DEP_1)
	v_mul_hi_u32 v5, v4, s1
	v_mul_lo_u32 v5, v5, s0
	s_delay_alu instid0(VALU_DEP_1) | instskip(NEXT) | instid1(VALU_DEP_1)
	v_sub_nc_u32_e32 v4, v4, v5
	v_subrev_nc_u32_e32 v5, s0, v4
	v_cmp_le_u32_e32 vcc_lo, s0, v4
	s_delay_alu instid0(VALU_DEP_2) | instskip(NEXT) | instid1(VALU_DEP_1)
	v_cndmask_b32_e32 v4, v4, v5, vcc_lo
	v_subrev_nc_u32_e32 v5, s0, v4
	v_cmp_le_u32_e32 vcc_lo, s0, v4
	s_delay_alu instid0(VALU_DEP_2) | instskip(NEXT) | instid1(VALU_DEP_1)
	v_cndmask_b32_e32 v4, v4, v5, vcc_lo
	v_xor_b32_e32 v4, v4, v0
	s_delay_alu instid0(VALU_DEP_1) | instskip(NEXT) | instid1(VALU_DEP_1)
	v_sub_nc_u32_e32 v0, v4, v0
	v_add_nc_u32_e32 v0, s6, v0
	s_delay_alu instid0(VALU_DEP_1) | instskip(SKIP_2) | instid1(VALU_DEP_1)
	v_cmp_gt_i32_e32 vcc_lo, v1, v0
	v_cndmask_b32_e64 v0, 0, 1.0, vcc_lo
	s_wait_loadcnt 0x0
	v_fmamk_f32 v0, v0, 0xff7fffff, v3
	global_store_b32 v2, v0, s[2:3] scale_offset
.LBB0_2:
	s_endpgm
	.section	.rodata,"a",@progbits
	.p2align	6, 0x0
	.amdhsa_kernel _ZL17diag_mask_inf_f32PKfPfiii
		.amdhsa_group_segment_fixed_size 0
		.amdhsa_private_segment_fixed_size 0
		.amdhsa_kernarg_size 288
		.amdhsa_user_sgpr_count 2
		.amdhsa_user_sgpr_dispatch_ptr 0
		.amdhsa_user_sgpr_queue_ptr 0
		.amdhsa_user_sgpr_kernarg_segment_ptr 1
		.amdhsa_user_sgpr_dispatch_id 0
		.amdhsa_user_sgpr_kernarg_preload_length 0
		.amdhsa_user_sgpr_kernarg_preload_offset 0
		.amdhsa_user_sgpr_private_segment_size 0
		.amdhsa_wavefront_size32 1
		.amdhsa_uses_dynamic_stack 0
		.amdhsa_enable_private_segment 0
		.amdhsa_system_sgpr_workgroup_id_x 1
		.amdhsa_system_sgpr_workgroup_id_y 1
		.amdhsa_system_sgpr_workgroup_id_z 0
		.amdhsa_system_sgpr_workgroup_info 0
		.amdhsa_system_vgpr_workitem_id 1
		.amdhsa_next_free_vgpr 6
		.amdhsa_next_free_sgpr 10
		.amdhsa_named_barrier_count 0
		.amdhsa_reserve_vcc 1
		.amdhsa_float_round_mode_32 0
		.amdhsa_float_round_mode_16_64 0
		.amdhsa_float_denorm_mode_32 3
		.amdhsa_float_denorm_mode_16_64 3
		.amdhsa_fp16_overflow 0
		.amdhsa_memory_ordered 1
		.amdhsa_forward_progress 1
		.amdhsa_inst_pref_size 4
		.amdhsa_round_robin_scheduling 0
		.amdhsa_exception_fp_ieee_invalid_op 0
		.amdhsa_exception_fp_denorm_src 0
		.amdhsa_exception_fp_ieee_div_zero 0
		.amdhsa_exception_fp_ieee_overflow 0
		.amdhsa_exception_fp_ieee_underflow 0
		.amdhsa_exception_fp_ieee_inexact 0
		.amdhsa_exception_int_div_zero 0
	.end_amdhsa_kernel
	.section	.text._ZL17diag_mask_inf_f32PKfPfiii,"axG",@progbits,_ZL17diag_mask_inf_f32PKfPfiii,comdat
.Lfunc_end0:
	.size	_ZL17diag_mask_inf_f32PKfPfiii, .Lfunc_end0-_ZL17diag_mask_inf_f32PKfPfiii
                                        ; -- End function
	.set _ZL17diag_mask_inf_f32PKfPfiii.num_vgpr, 6
	.set _ZL17diag_mask_inf_f32PKfPfiii.num_agpr, 0
	.set _ZL17diag_mask_inf_f32PKfPfiii.numbered_sgpr, 10
	.set _ZL17diag_mask_inf_f32PKfPfiii.num_named_barrier, 0
	.set _ZL17diag_mask_inf_f32PKfPfiii.private_seg_size, 0
	.set _ZL17diag_mask_inf_f32PKfPfiii.uses_vcc, 1
	.set _ZL17diag_mask_inf_f32PKfPfiii.uses_flat_scratch, 0
	.set _ZL17diag_mask_inf_f32PKfPfiii.has_dyn_sized_stack, 0
	.set _ZL17diag_mask_inf_f32PKfPfiii.has_recursion, 0
	.set _ZL17diag_mask_inf_f32PKfPfiii.has_indirect_call, 0
	.section	.AMDGPU.csdata,"",@progbits
; Kernel info:
; codeLenInByte = 416
; TotalNumSgprs: 12
; NumVgprs: 6
; ScratchSize: 0
; MemoryBound: 0
; FloatMode: 240
; IeeeMode: 1
; LDSByteSize: 0 bytes/workgroup (compile time only)
; SGPRBlocks: 0
; VGPRBlocks: 0
; NumSGPRsForWavesPerEU: 12
; NumVGPRsForWavesPerEU: 6
; NamedBarCnt: 0
; Occupancy: 16
; WaveLimiterHint : 0
; COMPUTE_PGM_RSRC2:SCRATCH_EN: 0
; COMPUTE_PGM_RSRC2:USER_SGPR: 2
; COMPUTE_PGM_RSRC2:TRAP_HANDLER: 0
; COMPUTE_PGM_RSRC2:TGID_X_EN: 1
; COMPUTE_PGM_RSRC2:TGID_Y_EN: 1
; COMPUTE_PGM_RSRC2:TGID_Z_EN: 0
; COMPUTE_PGM_RSRC2:TIDIG_COMP_CNT: 1
	.section	.AMDGPU.gpr_maximums,"",@progbits
	.set amdgpu.max_num_vgpr, 0
	.set amdgpu.max_num_agpr, 0
	.set amdgpu.max_num_sgpr, 0
	.section	.AMDGPU.csdata,"",@progbits
	.type	__hip_cuid_57792baa737c3127,@object ; @__hip_cuid_57792baa737c3127
	.section	.bss,"aw",@nobits
	.globl	__hip_cuid_57792baa737c3127
__hip_cuid_57792baa737c3127:
	.byte	0                               ; 0x0
	.size	__hip_cuid_57792baa737c3127, 1

	.ident	"AMD clang version 22.0.0git (https://github.com/RadeonOpenCompute/llvm-project roc-7.2.4 26084 f58b06dce1f9c15707c5f808fd002e18c2accf7e)"
	.section	".note.GNU-stack","",@progbits
	.addrsig
	.addrsig_sym __hip_cuid_57792baa737c3127
	.amdgpu_metadata
---
amdhsa.kernels:
  - .args:
      - .address_space:  global
        .offset:         0
        .size:           8
        .value_kind:     global_buffer
      - .address_space:  global
        .offset:         8
        .size:           8
        .value_kind:     global_buffer
      - .offset:         16
        .size:           4
        .value_kind:     by_value
      - .offset:         20
        .size:           4
        .value_kind:     by_value
      - .offset:         24
        .size:           4
        .value_kind:     by_value
      - .offset:         32
        .size:           4
        .value_kind:     hidden_block_count_x
      - .offset:         36
        .size:           4
        .value_kind:     hidden_block_count_y
      - .offset:         40
        .size:           4
        .value_kind:     hidden_block_count_z
      - .offset:         44
        .size:           2
        .value_kind:     hidden_group_size_x
      - .offset:         46
        .size:           2
        .value_kind:     hidden_group_size_y
      - .offset:         48
        .size:           2
        .value_kind:     hidden_group_size_z
      - .offset:         50
        .size:           2
        .value_kind:     hidden_remainder_x
      - .offset:         52
        .size:           2
        .value_kind:     hidden_remainder_y
      - .offset:         54
        .size:           2
        .value_kind:     hidden_remainder_z
      - .offset:         72
        .size:           8
        .value_kind:     hidden_global_offset_x
      - .offset:         80
        .size:           8
        .value_kind:     hidden_global_offset_y
      - .offset:         88
        .size:           8
        .value_kind:     hidden_global_offset_z
      - .offset:         96
        .size:           2
        .value_kind:     hidden_grid_dims
    .group_segment_fixed_size: 0
    .kernarg_segment_align: 8
    .kernarg_segment_size: 288
    .language:       OpenCL C
    .language_version:
      - 2
      - 0
    .max_flat_workgroup_size: 1024
    .name:           _ZL17diag_mask_inf_f32PKfPfiii
    .private_segment_fixed_size: 0
    .sgpr_count:     12
    .sgpr_spill_count: 0
    .symbol:         _ZL17diag_mask_inf_f32PKfPfiii.kd
    .uniform_work_group_size: 1
    .uses_dynamic_stack: false
    .vgpr_count:     6
    .vgpr_spill_count: 0
    .wavefront_size: 32
amdhsa.target:   amdgcn-amd-amdhsa--gfx1250
amdhsa.version:
  - 1
  - 2
...

	.end_amdgpu_metadata
